;; amdgpu-corpus repo=ROCm/rocFFT kind=compiled arch=gfx1201 opt=O3
	.text
	.amdgcn_target "amdgcn-amd-amdhsa--gfx1201"
	.amdhsa_code_object_version 6
	.protected	fft_rtc_back_len84_factors_7_2_6_wgs_336_tpt_14_sp_op_CI_CI_sbcc_twdbase6_3step ; -- Begin function fft_rtc_back_len84_factors_7_2_6_wgs_336_tpt_14_sp_op_CI_CI_sbcc_twdbase6_3step
	.globl	fft_rtc_back_len84_factors_7_2_6_wgs_336_tpt_14_sp_op_CI_CI_sbcc_twdbase6_3step
	.p2align	8
	.type	fft_rtc_back_len84_factors_7_2_6_wgs_336_tpt_14_sp_op_CI_CI_sbcc_twdbase6_3step,@function
fft_rtc_back_len84_factors_7_2_6_wgs_336_tpt_14_sp_op_CI_CI_sbcc_twdbase6_3step: ; @fft_rtc_back_len84_factors_7_2_6_wgs_336_tpt_14_sp_op_CI_CI_sbcc_twdbase6_3step
; %bb.0:
	s_clause 0x1
	s_load_b256 s[4:11], s[0:1], 0x8
	s_load_b64 s[24:25], s[0:1], 0x28
	s_mov_b32 s2, ttmp9
	s_mov_b32 s3, exec_lo
	v_cmpx_gt_u32_e32 0xc0, v0
	s_cbranch_execz .LBB0_2
; %bb.1:
	v_lshlrev_b32_e32 v3, 3, v0
	s_wait_kmcnt 0x0
	global_load_b64 v[1:2], v3, s[4:5]
	v_add_nc_u32_e32 v3, 0, v3
	s_wait_loadcnt 0x0
	ds_store_b64 v3, v[1:2] offset:16128
.LBB0_2:
	s_or_b32 exec_lo, exec_lo, s3
	s_mov_b32 s3, 0
	s_wait_kmcnt 0x0
	s_mov_b32 s4, 0xaaaa0000
	s_mov_b32 s5, 42
	s_mov_b32 s12, s3
	s_mov_b32 s13, s3
	s_load_b64 s[28:29], s[8:9], 0x8
	s_add_nc_u64 s[4:5], s[12:13], s[4:5]
	s_movk_i32 s12, 0xffe8
	s_add_co_i32 s5, s5, 0xaaaaa80
	s_mov_b32 s13, -1
	s_mov_b32 s17, s3
	s_mul_u64 s[12:13], s[4:5], s[12:13]
	s_mov_b64 s[20:21], 0
	s_mul_hi_u32 s15, s4, s13
	s_mul_i32 s14, s4, s13
	s_mul_hi_u32 s16, s4, s12
	s_mul_hi_u32 s18, s5, s12
	s_mul_i32 s12, s5, s12
	s_add_nc_u64 s[14:15], s[16:17], s[14:15]
	s_mul_hi_u32 s16, s5, s13
	s_add_co_u32 s12, s14, s12
	s_add_co_ci_u32 s12, s15, s18
	s_add_co_ci_u32 s15, s16, 0
	s_mul_i32 s14, s5, s13
	s_mov_b32 s13, s3
	s_delay_alu instid0(SALU_CYCLE_1) | instskip(SKIP_3) | instid1(VALU_DEP_1)
	s_add_nc_u64 s[12:13], s[12:13], s[14:15]
	s_wait_kmcnt 0x0
	s_add_nc_u64 s[14:15], s[28:29], -1
	v_add_co_u32 v1, s4, s4, s12
	s_cmp_lg_u32 s4, 0
	s_add_co_ci_u32 s17, s5, s13
	s_delay_alu instid0(VALU_DEP_1) | instskip(SKIP_3) | instid1(VALU_DEP_1)
	v_readfirstlane_b32 s16, v1
	s_mul_hi_u32 s5, s14, s17
	s_mul_i32 s4, s14, s17
	s_mov_b32 s13, s3
	s_mul_hi_u32 s12, s14, s16
	s_wait_alu 0xfffe
	s_add_nc_u64 s[4:5], s[12:13], s[4:5]
	s_mul_i32 s13, s15, s16
	s_mul_hi_u32 s16, s15, s16
	s_mul_hi_u32 s12, s15, s17
	s_wait_alu 0xfffe
	s_add_co_u32 s4, s4, s13
	s_add_co_ci_u32 s4, s5, s16
	s_add_co_ci_u32 s13, s12, 0
	s_mul_i32 s12, s15, s17
	s_mov_b32 s5, s3
	s_wait_alu 0xfffe
	s_add_nc_u64 s[4:5], s[4:5], s[12:13]
	s_wait_alu 0xfffe
	s_mul_u64 s[12:13], s[4:5], 24
	s_wait_alu 0xfffe
	v_sub_co_u32 v1, s12, s14, s12
	s_delay_alu instid0(VALU_DEP_1) | instskip(SKIP_1) | instid1(VALU_DEP_1)
	s_cmp_lg_u32 s12, 0
	s_sub_co_ci_u32 s16, s15, s13
	v_sub_co_u32 v2, s14, v1, 24
	s_delay_alu instid0(VALU_DEP_1) | instskip(SKIP_2) | instid1(VALU_DEP_2)
	s_cmp_lg_u32 s14, 0
	v_readfirstlane_b32 s18, v1
	s_sub_co_ci_u32 s14, s16, 0
	v_readfirstlane_b32 s12, v2
	s_delay_alu instid0(VALU_DEP_1)
	s_cmp_gt_u32 s12, 23
	s_add_nc_u64 s[12:13], s[4:5], 1
	s_cselect_b32 s17, -1, 0
	s_wait_alu 0xfffe
	s_cmp_eq_u32 s14, 0
	s_add_nc_u64 s[14:15], s[4:5], 2
	s_cselect_b32 s17, s17, -1
	s_delay_alu instid0(SALU_CYCLE_1)
	s_cmp_lg_u32 s17, 0
	s_wait_alu 0xfffe
	s_cselect_b32 s12, s14, s12
	s_cselect_b32 s13, s15, s13
	s_cmp_gt_u32 s18, 23
	s_cselect_b32 s14, -1, 0
	s_cmp_eq_u32 s16, 0
	s_wait_alu 0xfffe
	s_cselect_b32 s14, s14, -1
	s_wait_alu 0xfffe
	s_cmp_lg_u32 s14, 0
	s_cselect_b32 s5, s13, s5
	s_cselect_b32 s4, s12, s4
	s_wait_alu 0xfffe
	s_add_nc_u64 s[34:35], s[4:5], 1
	s_delay_alu instid0(SALU_CYCLE_1) | instskip(NEXT) | instid1(VALU_DEP_1)
	v_cmp_lt_u64_e64 s4, s[2:3], s[34:35]
	s_and_b32 vcc_lo, exec_lo, s4
	s_cbranch_vccnz .LBB0_4
; %bb.3:
	v_cvt_f32_u32_e32 v1, s34
	s_sub_co_i32 s5, 0, s34
	s_mov_b32 s21, s3
	s_delay_alu instid0(VALU_DEP_1) | instskip(NEXT) | instid1(TRANS32_DEP_1)
	v_rcp_iflag_f32_e32 v1, v1
	v_mul_f32_e32 v1, 0x4f7ffffe, v1
	s_delay_alu instid0(VALU_DEP_1) | instskip(NEXT) | instid1(VALU_DEP_1)
	v_cvt_u32_f32_e32 v1, v1
	v_readfirstlane_b32 s4, v1
	s_wait_alu 0xfffe
	s_delay_alu instid0(VALU_DEP_1)
	s_mul_i32 s5, s5, s4
	s_wait_alu 0xfffe
	s_mul_hi_u32 s5, s4, s5
	s_wait_alu 0xfffe
	s_add_co_i32 s4, s4, s5
	s_wait_alu 0xfffe
	s_mul_hi_u32 s4, s2, s4
	s_wait_alu 0xfffe
	s_mul_i32 s5, s4, s34
	s_add_co_i32 s12, s4, 1
	s_wait_alu 0xfffe
	s_sub_co_i32 s5, s2, s5
	s_wait_alu 0xfffe
	s_sub_co_i32 s13, s5, s34
	s_cmp_ge_u32 s5, s34
	s_cselect_b32 s4, s12, s4
	s_wait_alu 0xfffe
	s_cselect_b32 s5, s13, s5
	s_add_co_i32 s12, s4, 1
	s_wait_alu 0xfffe
	s_cmp_ge_u32 s5, s34
	s_cselect_b32 s20, s12, s4
.LBB0_4:
	s_load_b128 s[16:19], s[10:11], 0x0
	s_load_b128 s[12:15], s[24:25], 0x0
	s_load_b64 s[22:23], s[0:1], 0x0
	v_cmp_lt_u64_e64 s30, s[6:7], 3
	s_mul_u64 s[4:5], s[20:21], s[34:35]
	s_wait_alu 0xfffe
	s_sub_nc_u64 s[4:5], s[2:3], s[4:5]
	s_wait_alu 0xfffe
	s_mul_u64 s[26:27], s[4:5], 24
	s_and_b32 vcc_lo, exec_lo, s30
	s_wait_kmcnt 0x0
	s_mul_u64 s[30:31], s[18:19], s[26:27]
	s_mul_u64 s[4:5], s[14:15], s[26:27]
	s_cbranch_vccnz .LBB0_14
; %bb.5:
	s_add_nc_u64 s[36:37], s[24:25], 16
	s_add_nc_u64 s[38:39], s[10:11], 16
	;; [unrolled: 1-line block ×3, first 2 shown]
	s_mov_b64 s[40:41], 2
	s_mov_b32 s42, 0
.LBB0_6:                                ; =>This Inner Loop Header: Depth=1
	s_load_b64 s[44:45], s[8:9], 0x0
                                        ; implicit-def: $sgpr48_sgpr49
	s_wait_kmcnt 0x0
	s_or_b64 s[46:47], s[20:21], s[44:45]
	s_delay_alu instid0(SALU_CYCLE_1)
	s_mov_b32 s43, s47
	s_mov_b32 s47, -1
	s_cmp_lg_u64 s[42:43], 0
	s_cbranch_scc0 .LBB0_8
; %bb.7:                                ;   in Loop: Header=BB0_6 Depth=1
	s_cvt_f32_u32 s33, s44
	s_cvt_f32_u32 s43, s45
	s_sub_nc_u64 s[50:51], 0, s[44:45]
	s_mov_b32 s47, 0
	s_mov_b32 s55, s42
	s_wait_alu 0xfffe
	s_fmamk_f32 s33, s43, 0x4f800000, s33
	s_wait_alu 0xfffe
	s_delay_alu instid0(SALU_CYCLE_2) | instskip(NEXT) | instid1(TRANS32_DEP_1)
	v_s_rcp_f32 s33, s33
	s_mul_f32 s33, s33, 0x5f7ffffc
	s_wait_alu 0xfffe
	s_delay_alu instid0(SALU_CYCLE_2) | instskip(NEXT) | instid1(SALU_CYCLE_3)
	s_mul_f32 s43, s33, 0x2f800000
	s_trunc_f32 s43, s43
	s_delay_alu instid0(SALU_CYCLE_3) | instskip(SKIP_2) | instid1(SALU_CYCLE_1)
	s_fmamk_f32 s33, s43, 0xcf800000, s33
	s_cvt_u32_f32 s49, s43
	s_wait_alu 0xfffe
	s_cvt_u32_f32 s48, s33
	s_wait_alu 0xfffe
	s_delay_alu instid0(SALU_CYCLE_2)
	s_mul_u64 s[52:53], s[50:51], s[48:49]
	s_wait_alu 0xfffe
	s_mul_hi_u32 s57, s48, s53
	s_mul_i32 s56, s48, s53
	s_mul_hi_u32 s46, s48, s52
	s_mul_i32 s43, s49, s52
	s_add_nc_u64 s[56:57], s[46:47], s[56:57]
	s_mul_hi_u32 s33, s49, s52
	s_mul_hi_u32 s58, s49, s53
	s_add_co_u32 s43, s56, s43
	s_wait_alu 0xfffe
	s_add_co_ci_u32 s54, s57, s33
	s_mul_i32 s52, s49, s53
	s_add_co_ci_u32 s53, s58, 0
	s_wait_alu 0xfffe
	s_add_nc_u64 s[52:53], s[54:55], s[52:53]
	s_wait_alu 0xfffe
	v_add_co_u32 v1, s33, s48, s52
	s_delay_alu instid0(VALU_DEP_1) | instskip(SKIP_1) | instid1(VALU_DEP_1)
	s_cmp_lg_u32 s33, 0
	s_add_co_ci_u32 s49, s49, s53
	v_readfirstlane_b32 s48, v1
	s_mov_b32 s53, s42
	s_wait_alu 0xfffe
	s_delay_alu instid0(VALU_DEP_1)
	s_mul_u64 s[50:51], s[50:51], s[48:49]
	s_wait_alu 0xfffe
	s_mul_hi_u32 s55, s48, s51
	s_mul_i32 s54, s48, s51
	s_mul_hi_u32 s46, s48, s50
	s_mul_i32 s43, s49, s50
	s_add_nc_u64 s[54:55], s[46:47], s[54:55]
	s_mul_hi_u32 s33, s49, s50
	s_mul_hi_u32 s48, s49, s51
	s_add_co_u32 s43, s54, s43
	s_wait_alu 0xfffe
	s_add_co_ci_u32 s52, s55, s33
	s_mul_i32 s50, s49, s51
	s_add_co_ci_u32 s51, s48, 0
	s_wait_alu 0xfffe
	s_add_nc_u64 s[50:51], s[52:53], s[50:51]
	s_wait_alu 0xfffe
	v_add_co_u32 v1, s33, v1, s50
	s_delay_alu instid0(VALU_DEP_1) | instskip(SKIP_1) | instid1(VALU_DEP_1)
	s_cmp_lg_u32 s33, 0
	s_add_co_ci_u32 s33, s49, s51
	v_readfirstlane_b32 s43, v1
	s_wait_alu 0xfffe
	s_mul_hi_u32 s49, s20, s33
	s_mul_i32 s48, s20, s33
	s_mul_hi_u32 s51, s21, s33
	s_mul_i32 s50, s21, s33
	s_mul_hi_u32 s46, s20, s43
	s_mul_i32 s33, s21, s43
	s_wait_alu 0xfffe
	s_add_nc_u64 s[48:49], s[46:47], s[48:49]
	s_mul_hi_u32 s43, s21, s43
	s_wait_alu 0xfffe
	s_add_co_u32 s33, s48, s33
	s_add_co_ci_u32 s52, s49, s43
	s_add_co_ci_u32 s51, s51, 0
	s_wait_alu 0xfffe
	s_add_nc_u64 s[48:49], s[52:53], s[50:51]
	s_wait_alu 0xfffe
	s_mul_u64 s[50:51], s[44:45], s[48:49]
	s_add_nc_u64 s[52:53], s[48:49], 1
	s_wait_alu 0xfffe
	v_sub_co_u32 v1, s33, s20, s50
	s_sub_co_i32 s43, s21, s51
	s_cmp_lg_u32 s33, 0
	s_add_nc_u64 s[54:55], s[48:49], 2
	s_delay_alu instid0(VALU_DEP_1) | instskip(SKIP_2) | instid1(VALU_DEP_1)
	v_sub_co_u32 v2, s46, v1, s44
	s_sub_co_ci_u32 s43, s43, s45
	s_cmp_lg_u32 s46, 0
	v_readfirstlane_b32 s46, v2
	s_sub_co_ci_u32 s43, s43, 0
	s_delay_alu instid0(SALU_CYCLE_1) | instskip(SKIP_1) | instid1(VALU_DEP_1)
	s_cmp_ge_u32 s43, s45
	s_cselect_b32 s50, -1, 0
	s_cmp_ge_u32 s46, s44
	s_cselect_b32 s46, -1, 0
	s_cmp_eq_u32 s43, s45
	s_wait_alu 0xfffe
	s_cselect_b32 s43, s46, s50
	s_delay_alu instid0(SALU_CYCLE_1)
	s_cmp_lg_u32 s43, 0
	s_cselect_b32 s43, s54, s52
	s_cselect_b32 s46, s55, s53
	s_cmp_lg_u32 s33, 0
	v_readfirstlane_b32 s33, v1
	s_sub_co_ci_u32 s50, s21, s51
	s_wait_alu 0xfffe
	s_cmp_ge_u32 s50, s45
	s_cselect_b32 s51, -1, 0
	s_cmp_ge_u32 s33, s44
	s_cselect_b32 s33, -1, 0
	s_cmp_eq_u32 s50, s45
	s_wait_alu 0xfffe
	s_cselect_b32 s33, s33, s51
	s_wait_alu 0xfffe
	s_cmp_lg_u32 s33, 0
	s_cselect_b32 s49, s46, s49
	s_cselect_b32 s48, s43, s48
.LBB0_8:                                ;   in Loop: Header=BB0_6 Depth=1
	s_and_not1_b32 vcc_lo, exec_lo, s47
	s_cbranch_vccnz .LBB0_10
; %bb.9:                                ;   in Loop: Header=BB0_6 Depth=1
	v_cvt_f32_u32_e32 v1, s44
	s_sub_co_i32 s43, 0, s44
	s_mov_b32 s49, s42
	s_delay_alu instid0(VALU_DEP_1) | instskip(NEXT) | instid1(TRANS32_DEP_1)
	v_rcp_iflag_f32_e32 v1, v1
	v_mul_f32_e32 v1, 0x4f7ffffe, v1
	s_delay_alu instid0(VALU_DEP_1) | instskip(NEXT) | instid1(VALU_DEP_1)
	v_cvt_u32_f32_e32 v1, v1
	v_readfirstlane_b32 s33, v1
	s_delay_alu instid0(VALU_DEP_1) | instskip(NEXT) | instid1(SALU_CYCLE_1)
	s_mul_i32 s43, s43, s33
	s_mul_hi_u32 s43, s33, s43
	s_delay_alu instid0(SALU_CYCLE_1)
	s_add_co_i32 s33, s33, s43
	s_wait_alu 0xfffe
	s_mul_hi_u32 s33, s20, s33
	s_wait_alu 0xfffe
	s_mul_i32 s43, s33, s44
	s_add_co_i32 s46, s33, 1
	s_sub_co_i32 s43, s20, s43
	s_delay_alu instid0(SALU_CYCLE_1)
	s_sub_co_i32 s47, s43, s44
	s_cmp_ge_u32 s43, s44
	s_cselect_b32 s33, s46, s33
	s_cselect_b32 s43, s47, s43
	s_wait_alu 0xfffe
	s_add_co_i32 s46, s33, 1
	s_cmp_ge_u32 s43, s44
	s_cselect_b32 s48, s46, s33
.LBB0_10:                               ;   in Loop: Header=BB0_6 Depth=1
	s_load_b64 s[46:47], s[38:39], 0x0
	s_load_b64 s[50:51], s[36:37], 0x0
	s_add_nc_u64 s[40:41], s[40:41], 1
	s_mul_u64 s[34:35], s[44:45], s[34:35]
	s_wait_alu 0xfffe
	v_cmp_ge_u64_e64 s33, s[40:41], s[6:7]
	s_mul_u64 s[44:45], s[48:49], s[44:45]
	s_add_nc_u64 s[36:37], s[36:37], 8
	s_wait_alu 0xfffe
	s_sub_nc_u64 s[20:21], s[20:21], s[44:45]
	s_add_nc_u64 s[38:39], s[38:39], 8
	s_add_nc_u64 s[8:9], s[8:9], 8
	s_and_b32 vcc_lo, exec_lo, s33
	s_wait_kmcnt 0x0
	s_wait_alu 0xfffe
	s_mul_u64 s[44:45], s[46:47], s[20:21]
	s_mul_u64 s[20:21], s[50:51], s[20:21]
	s_wait_alu 0xfffe
	s_add_nc_u64 s[30:31], s[44:45], s[30:31]
	s_add_nc_u64 s[4:5], s[20:21], s[4:5]
	s_cbranch_vccnz .LBB0_12
; %bb.11:                               ;   in Loop: Header=BB0_6 Depth=1
	s_mov_b64 s[20:21], s[48:49]
	s_branch .LBB0_6
.LBB0_12:
	v_cmp_lt_u64_e64 s3, s[2:3], s[34:35]
	s_mov_b64 s[20:21], 0
	s_delay_alu instid0(VALU_DEP_1)
	s_and_b32 vcc_lo, exec_lo, s3
	s_cbranch_vccnz .LBB0_14
; %bb.13:
	v_cvt_f32_u32_e32 v1, s34
	s_sub_co_i32 s8, 0, s34
	s_mov_b32 s21, 0
	s_delay_alu instid0(VALU_DEP_1) | instskip(NEXT) | instid1(TRANS32_DEP_1)
	v_rcp_iflag_f32_e32 v1, v1
	v_mul_f32_e32 v1, 0x4f7ffffe, v1
	s_delay_alu instid0(VALU_DEP_1) | instskip(NEXT) | instid1(VALU_DEP_1)
	v_cvt_u32_f32_e32 v1, v1
	v_readfirstlane_b32 s3, v1
	s_delay_alu instid0(VALU_DEP_1) | instskip(NEXT) | instid1(SALU_CYCLE_1)
	s_mul_i32 s8, s8, s3
	s_mul_hi_u32 s8, s3, s8
	s_delay_alu instid0(SALU_CYCLE_1) | instskip(SKIP_4) | instid1(SALU_CYCLE_1)
	s_add_co_i32 s3, s3, s8
	s_wait_alu 0xfffe
	s_mul_hi_u32 s3, s2, s3
	s_wait_alu 0xfffe
	s_mul_i32 s8, s3, s34
	s_sub_co_i32 s2, s2, s8
	s_add_co_i32 s8, s3, 1
	s_wait_alu 0xfffe
	s_sub_co_i32 s9, s2, s34
	s_cmp_ge_u32 s2, s34
	s_cselect_b32 s3, s8, s3
	s_cselect_b32 s2, s9, s2
	s_wait_alu 0xfffe
	s_add_co_i32 s8, s3, 1
	s_cmp_ge_u32 s2, s34
	s_cselect_b32 s20, s8, s3
.LBB0_14:
	v_mul_hi_u32 v19, 0xaaaaaab, v0
	s_load_b128 s[0:3], s[0:1], 0x60
	s_add_nc_u64 s[8:9], s[26:27], 24
	s_lshl_b64 s[6:7], s[6:7], 3
	v_cmp_le_u64_e64 s8, s[8:9], s[28:29]
	s_delay_alu instid0(VALU_DEP_2)
	v_mul_u32_u24_e32 v1, 24, v19
	v_lshlrev_b32_e32 v21, 3, v19
	v_add_nc_u32_e32 v17, 14, v19
	v_add_nc_u32_e32 v18, 28, v19
	v_add_nc_u32_e32 v16, 42, v19
	v_sub_nc_u32_e32 v20, v0, v1
	v_add_nc_u32_e32 v15, 56, v19
	v_add_nc_u32_e32 v14, 0x46, v19
	s_delay_alu instid0(VALU_DEP_3) | instskip(SKIP_3) | instid1(VALU_DEP_2)
	v_add_co_u32 v1, s33, s26, v20
	s_wait_alu 0xf1ff
	v_add_co_ci_u32_e64 v2, null, s27, 0, s33
	v_mul_lo_u32 v22, 0x2a0, v20
	v_cmp_gt_u64_e32 vcc_lo, s[28:29], v[1:2]
	s_or_b32 s8, s8, vcc_lo
	s_wait_alu 0xfffe
	s_and_saveexec_b32 s9, s8
	s_cbranch_execz .LBB0_16
; %bb.15:
	s_add_nc_u64 s[10:11], s[10:11], s[6:7]
	v_mad_co_u64_u32 v[1:2], null, s18, v20, 0
	s_load_b64 s[10:11], s[10:11], 0x0
	v_mad_co_u64_u32 v[3:4], null, s16, v19, 0
	v_mad_co_u64_u32 v[5:6], null, s16, v17, 0
	;; [unrolled: 1-line block ×4, first 2 shown]
	s_delay_alu instid0(VALU_DEP_4) | instskip(SKIP_4) | instid1(VALU_DEP_2)
	v_mad_co_u64_u32 v[7:8], null, s19, v20, v[2:3]
	v_mad_co_u64_u32 v[8:9], null, s16, v18, 0
	v_mov_b32_e32 v2, v4
	v_mov_b32_e32 v4, v6
	s_lshl_b64 s[18:19], s[30:31], 3
	v_mad_co_u64_u32 v[10:11], null, s17, v19, v[2:3]
	v_mov_b32_e32 v2, v7
	s_wait_kmcnt 0x0
	s_mul_u64 s[10:11], s[10:11], s[20:21]
	v_mad_co_u64_u32 v[11:12], null, s16, v16, 0
	s_lshl_b64 s[10:11], s[10:11], 3
	v_lshlrev_b64_e32 v[1:2], 3, v[1:2]
	s_add_nc_u64 s[0:1], s[0:1], s[10:11]
	v_mad_co_u64_u32 v[6:7], null, s17, v17, v[4:5]
	v_mov_b32_e32 v4, v10
	s_wait_alu 0xfffe
	s_add_nc_u64 s[0:1], s[0:1], s[18:19]
	s_delay_alu instid0(SALU_CYCLE_1) | instskip(SKIP_3) | instid1(VALU_DEP_1)
	v_add_co_u32 v27, vcc_lo, s0, v1
	v_add_co_ci_u32_e32 v28, vcc_lo, s1, v2, vcc_lo
	v_lshlrev_b64_e32 v[2:3], 3, v[3:4]
	v_dual_mov_b32 v1, v9 :: v_dual_mov_b32 v4, v12
	v_mad_co_u64_u32 v[9:10], null, s17, v18, v[1:2]
	v_add_co_u32 v1, vcc_lo, v27, v2
	s_delay_alu instid0(VALU_DEP_3) | instskip(SKIP_4) | instid1(VALU_DEP_1)
	v_mad_co_u64_u32 v[12:13], null, s17, v16, v[4:5]
	v_lshlrev_b64_e32 v[4:5], 3, v[5:6]
	s_wait_alu 0xfffd
	v_add_co_ci_u32_e32 v2, vcc_lo, v28, v3, vcc_lo
	v_mov_b32_e32 v3, v24
	v_mad_co_u64_u32 v[6:7], null, s17, v15, v[3:4]
	v_mov_b32_e32 v3, v26
	v_add_co_u32 v4, vcc_lo, v27, v4
	v_lshlrev_b64_e32 v[7:8], 3, v[8:9]
	s_wait_alu 0xfffd
	v_add_co_ci_u32_e32 v5, vcc_lo, v28, v5, vcc_lo
	s_delay_alu instid0(VALU_DEP_3)
	v_mad_co_u64_u32 v[9:10], null, s17, v14, v[3:4]
	v_lshlrev_b64_e32 v[10:11], 3, v[11:12]
	v_mov_b32_e32 v24, v6
	v_add_co_u32 v6, vcc_lo, v27, v7
	s_wait_alu 0xfffd
	v_add_co_ci_u32_e32 v7, vcc_lo, v28, v8, vcc_lo
	v_mov_b32_e32 v26, v9
	v_lshlrev_b64_e32 v[12:13], 3, v[23:24]
	v_add_co_u32 v8, vcc_lo, v27, v10
	s_wait_alu 0xfffd
	v_add_co_ci_u32_e32 v9, vcc_lo, v28, v11, vcc_lo
	v_lshlrev_b64_e32 v[10:11], 3, v[25:26]
	s_delay_alu instid0(VALU_DEP_4) | instskip(SKIP_2) | instid1(VALU_DEP_3)
	v_add_co_u32 v12, vcc_lo, v27, v12
	s_wait_alu 0xfffd
	v_add_co_ci_u32_e32 v13, vcc_lo, v28, v13, vcc_lo
	v_add_co_u32 v10, vcc_lo, v27, v10
	s_wait_alu 0xfffd
	v_add_co_ci_u32_e32 v11, vcc_lo, v28, v11, vcc_lo
	s_clause 0x5
	global_load_b64 v[1:2], v[1:2], off
	global_load_b64 v[3:4], v[4:5], off
	;; [unrolled: 1-line block ×6, first 2 shown]
	v_add3_u32 v11, 0, v22, v21
	s_wait_loadcnt 0x4
	ds_store_2addr_b64 v11, v[1:2], v[3:4] offset1:14
	s_wait_loadcnt 0x2
	ds_store_2addr_b64 v11, v[5:6], v[7:8] offset0:28 offset1:42
	s_wait_loadcnt 0x0
	ds_store_2addr_b64 v11, v[12:13], v[9:10] offset0:56 offset1:70
.LBB0_16:
	s_wait_alu 0xfffe
	s_or_b32 exec_lo, exec_lo, s9
	s_wait_kmcnt 0x0
	s_mov_b32 s0, 0
	s_mov_b32 s10, 0xaaaa0000
	;; [unrolled: 1-line block ×3, first 2 shown]
	s_wait_alu 0xfffe
	s_mov_b32 s1, s0
	s_movk_i32 s16, 0xffe8
	s_wait_alu 0xfffe
	s_add_nc_u64 s[10:11], s[0:1], s[10:11]
	s_mov_b32 s17, -1
	s_add_co_i32 s11, s11, 0xaaaaa80
	s_mov_b32 s29, s0
	s_wait_alu 0xfffe
	s_mul_u64 s[16:17], s[10:11], s[16:17]
	v_mul_hi_u32 v5, 0x12492493, v0
	s_wait_alu 0xfffe
	s_mul_hi_u32 s19, s10, s17
	s_mul_i32 s18, s10, s17
	s_mul_hi_u32 s28, s10, s16
	s_mul_i32 s9, s11, s16
	s_wait_alu 0xfffe
	s_add_nc_u64 s[18:19], s[28:29], s[18:19]
	s_mul_hi_u32 s1, s11, s16
	s_mul_hi_u32 s28, s11, s17
	s_wait_alu 0xfffe
	s_add_co_u32 s9, s18, s9
	s_add_co_ci_u32 s16, s19, s1
	s_add_co_ci_u32 s19, s28, 0
	s_mul_i32 s18, s11, s17
	s_mov_b32 s17, s0
	global_wb scope:SCOPE_SE
	s_wait_dscnt 0x0
	s_wait_alu 0xfffe
	s_add_nc_u64 s[0:1], s[16:17], s[18:19]
	s_barrier_signal -1
	s_wait_alu 0xfffe
	v_add_co_u32 v3, s0, s10, s0
	s_delay_alu instid0(VALU_DEP_1) | instskip(SKIP_4) | instid1(VALU_DEP_2)
	s_cmp_lg_u32 s0, 0
	v_add_co_u32 v25, s0, s26, v5
	s_wait_alu 0xf1ff
	v_add_co_ci_u32_e64 v6, null, s27, 0, s0
	s_add_co_ci_u32 s0, s11, s1
	v_mul_hi_u32 v7, v25, v3
	s_wait_alu 0xfffe
	v_mad_co_u64_u32 v[1:2], null, v25, s0, 0
	v_mad_co_u64_u32 v[3:4], null, v6, v3, 0
	s_barrier_wait -1
	global_inv scope:SCOPE_SE
	v_add_co_u32 v7, vcc_lo, v7, v1
	s_wait_alu 0xfffd
	v_add_co_ci_u32_e32 v8, vcc_lo, 0, v2, vcc_lo
	v_mad_co_u64_u32 v[1:2], null, v6, s0, 0
	s_delay_alu instid0(VALU_DEP_3) | instskip(SKIP_1) | instid1(VALU_DEP_3)
	v_add_co_u32 v3, vcc_lo, v7, v3
	s_wait_alu 0xfffd
	v_add_co_ci_u32_e32 v3, vcc_lo, v8, v4, vcc_lo
	s_add_nc_u64 s[0:1], s[24:25], s[6:7]
	s_mov_b32 s6, exec_lo
	s_wait_alu 0xfffd
	s_delay_alu instid0(VALU_DEP_3) | instskip(SKIP_2) | instid1(VALU_DEP_2)
	v_add_co_ci_u32_e32 v2, vcc_lo, 0, v2, vcc_lo
	v_add_co_u32 v1, vcc_lo, v3, v1
	s_wait_alu 0xfffd
	v_add_co_ci_u32_e32 v3, vcc_lo, 0, v2, vcc_lo
	s_delay_alu instid0(VALU_DEP_2) | instskip(NEXT) | instid1(VALU_DEP_1)
	v_mad_co_u64_u32 v[1:2], null, v1, 24, 0
	v_mad_co_u64_u32 v[2:3], null, v3, 24, v[2:3]
	s_delay_alu instid0(VALU_DEP_2) | instskip(SKIP_1) | instid1(VALU_DEP_2)
	v_sub_co_u32 v1, vcc_lo, v25, v1
	s_wait_alu 0xfffd
	v_sub_co_ci_u32_e32 v2, vcc_lo, v6, v2, vcc_lo
	s_delay_alu instid0(VALU_DEP_2) | instskip(SKIP_1) | instid1(VALU_DEP_2)
	v_sub_co_u32 v3, vcc_lo, v1, 24
	s_wait_alu 0xfffd
	v_subrev_co_ci_u32_e32 v4, vcc_lo, 0, v2, vcc_lo
	s_delay_alu instid0(VALU_DEP_2)
	v_cmp_lt_u32_e32 vcc_lo, 23, v3
	s_wait_alu 0xfffd
	v_cndmask_b32_e64 v6, 0, -1, vcc_lo
	v_cmp_lt_u32_e32 vcc_lo, 23, v1
	s_wait_alu 0xfffd
	v_cndmask_b32_e64 v7, 0, -1, vcc_lo
	v_cmp_eq_u32_e32 vcc_lo, 0, v4
	s_wait_alu 0xfffd
	v_cndmask_b32_e32 v4, -1, v6, vcc_lo
	v_cmp_eq_u32_e32 vcc_lo, 0, v2
	v_subrev_nc_u32_e32 v6, 24, v3
	s_wait_alu 0xfffd
	v_cndmask_b32_e32 v2, -1, v7, vcc_lo
	v_cmp_ne_u32_e32 vcc_lo, 0, v4
	v_mul_u32_u24_e32 v4, 14, v5
	s_wait_alu 0xfffd
	v_cndmask_b32_e32 v3, v3, v6, vcc_lo
	v_cmp_ne_u32_e32 vcc_lo, 0, v2
	s_delay_alu instid0(VALU_DEP_3) | instskip(SKIP_1) | instid1(VALU_DEP_3)
	v_sub_nc_u32_e32 v26, v0, v4
	s_wait_alu 0xfffd
	v_cndmask_b32_e32 v1, v1, v3, vcc_lo
	s_delay_alu instid0(VALU_DEP_1) | instskip(NEXT) | instid1(VALU_DEP_3)
	v_mul_u32_u24_e32 v0, 0x54, v1
	v_lshlrev_b32_e32 v1, 3, v26
	s_delay_alu instid0(VALU_DEP_2) | instskip(NEXT) | instid1(VALU_DEP_2)
	v_lshlrev_b32_e32 v27, 3, v0
	v_add_nc_u32_e32 v28, 0, v1
	s_delay_alu instid0(VALU_DEP_2) | instskip(NEXT) | instid1(VALU_DEP_2)
	v_add3_u32 v24, 0, v27, v1
	v_add_nc_u32_e32 v23, v28, v27
	ds_load_b64 v[12:13], v24
	ds_load_2addr_b64 v[0:3], v23 offset0:12 offset1:24
	ds_load_2addr_b64 v[8:11], v23 offset0:36 offset1:48
	;; [unrolled: 1-line block ×3, first 2 shown]
	global_wb scope:SCOPE_SE
	s_wait_dscnt 0x0
	s_barrier_signal -1
	s_barrier_wait -1
	global_inv scope:SCOPE_SE
	v_cmpx_gt_u32_e32 12, v26
	s_cbranch_execz .LBB0_18
; %bb.17:
	v_dual_sub_f32 v29, v10, v8 :: v_dual_add_f32 v32, v1, v7
	v_dual_sub_f32 v30, v2, v4 :: v_dual_sub_f32 v31, v0, v6
	v_dual_add_f32 v33, v9, v11 :: v_dual_add_f32 v0, v0, v6
	s_delay_alu instid0(VALU_DEP_2) | instskip(NEXT) | instid1(VALU_DEP_3)
	v_dual_add_f32 v35, v3, v5 :: v_dual_sub_f32 v34, v29, v30
	v_dual_sub_f32 v6, v31, v29 :: v_dual_add_f32 v29, v29, v30
	v_add_f32_e32 v2, v2, v4
	v_add_f32_e32 v8, v8, v10
	s_delay_alu instid0(VALU_DEP_4) | instskip(NEXT) | instid1(VALU_DEP_4)
	v_mul_f32_e32 v34, 0x3f08b237, v34
	v_dual_sub_f32 v10, v32, v33 :: v_dual_add_f32 v29, v29, v31
	v_dual_add_f32 v36, v35, v32 :: v_dual_sub_f32 v7, v1, v7
	s_delay_alu instid0(VALU_DEP_3) | instskip(SKIP_2) | instid1(VALU_DEP_4)
	v_fmamk_f32 v37, v6, 0xbeae86e6, v34
	v_sub_f32_e32 v9, v11, v9
	v_sub_f32_e32 v32, v35, v32
	v_add_f32_e32 v36, v33, v36
	v_sub_f32_e32 v33, v33, v35
	v_fmac_f32_e32 v37, 0xbee1c552, v29
	v_dual_sub_f32 v39, v0, v8 :: v_dual_sub_f32 v30, v30, v31
	s_delay_alu instid0(VALU_DEP_4) | instskip(SKIP_2) | instid1(VALU_DEP_4)
	v_add_f32_e32 v4, v13, v36
	v_dual_add_f32 v13, v2, v0 :: v_dual_mul_f32 v10, 0x3f4a47b2, v10
	v_mul_f32_e32 v38, 0x3d64c772, v33
	v_mul_f32_e32 v11, 0x3f4a47b2, v39
	s_delay_alu instid0(VALU_DEP_3) | instskip(NEXT) | instid1(VALU_DEP_4)
	v_add_f32_e32 v13, v8, v13
	v_fmamk_f32 v33, v33, 0x3d64c772, v10
	v_dual_fmamk_f32 v36, v36, 0xbf955555, v4 :: v_dual_sub_f32 v5, v3, v5
	v_sub_f32_e32 v8, v8, v2
	s_delay_alu instid0(VALU_DEP_4) | instskip(SKIP_1) | instid1(VALU_DEP_3)
	v_add_f32_e32 v3, v12, v13
	v_dual_sub_f32 v39, v7, v9 :: v_dual_sub_f32 v0, v2, v0
	v_dual_sub_f32 v1, v9, v5 :: v_dual_fmamk_f32 v12, v8, 0x3d64c772, v11
	v_add_f32_e32 v33, v33, v36
	s_delay_alu instid0(VALU_DEP_4) | instskip(SKIP_1) | instid1(VALU_DEP_4)
	v_fmamk_f32 v13, v13, 0xbf955555, v3
	v_add_f32_e32 v9, v9, v5
	v_mul_f32_e32 v40, 0x3f08b237, v1
	s_delay_alu instid0(VALU_DEP_4) | instskip(NEXT) | instid1(VALU_DEP_3)
	v_dual_mul_f32 v8, 0x3d64c772, v8 :: v_dual_add_f32 v1, v37, v33
	v_dual_add_f32 v31, v12, v13 :: v_dual_add_f32 v2, v9, v7
	v_mul_f32_e32 v12, 0xbf5ff5aa, v30
	v_fma_f32 v9, 0xbf3bfb3b, v32, -v10
	v_fmamk_f32 v41, v39, 0xbeae86e6, v40
	v_sub_f32_e32 v5, v5, v7
	v_fma_f32 v10, 0xbf3bfb3b, v0, -v11
	v_fma_f32 v7, 0x3eae86e6, v6, -v12
	v_add_f32_e32 v12, v9, v36
	v_fma_f32 v9, 0xbf5ff5aa, v30, -v34
	v_fma_f32 v0, 0x3f3bfb3b, v0, -v8
	v_fmac_f32_e32 v41, 0xbee1c552, v2
	v_fmac_f32_e32 v7, 0xbee1c552, v29
	v_sub_f32_e32 v30, v33, v37
	v_fmac_f32_e32 v9, 0xbee1c552, v29
	v_add_f32_e32 v35, v10, v13
	v_mul_f32_e32 v6, 0xbf5ff5aa, v5
	v_add_f32_e32 v0, v0, v13
	v_add_f32_e32 v29, v31, v41
	s_delay_alu instid0(VALU_DEP_3) | instskip(SKIP_1) | instid1(VALU_DEP_1)
	v_fma_f32 v11, 0x3eae86e6, v39, -v6
	v_fma_f32 v6, 0x3f3bfb3b, v32, -v38
	v_add_f32_e32 v10, v6, v36
	v_add_f32_e32 v6, v7, v12
	v_fma_f32 v32, 0xbf5ff5aa, v5, -v40
	s_delay_alu instid0(VALU_DEP_1) | instskip(SKIP_3) | instid1(VALU_DEP_4)
	v_fmac_f32_e32 v32, 0xbee1c552, v2
	v_dual_sub_f32 v12, v12, v7 :: v_dual_fmac_f32 v11, 0xbee1c552, v2
	v_sub_f32_e32 v8, v10, v9
	v_mul_i32_i24_e32 v2, 48, v26
	v_dual_add_f32 v10, v9, v10 :: v_dual_sub_f32 v9, v0, v32
	s_delay_alu instid0(VALU_DEP_4) | instskip(SKIP_1) | instid1(VALU_DEP_4)
	v_sub_f32_e32 v5, v35, v11
	v_add_f32_e32 v11, v11, v35
	v_add3_u32 v2, v28, v2, v27
	v_dual_add_f32 v7, v32, v0 :: v_dual_sub_f32 v0, v31, v41
	ds_store_2addr_b64 v2, v[3:4], v[29:30] offset1:1
	ds_store_2addr_b64 v2, v[11:12], v[9:10] offset0:2 offset1:3
	ds_store_2addr_b64 v2, v[7:8], v[5:6] offset0:4 offset1:5
	ds_store_b64 v2, v[0:1] offset:48
.LBB0_18:
	s_wait_alu 0xfffe
	s_or_b32 exec_lo, exec_lo, s6
	v_add_nc_u16 v2, v26, 14
	v_add_nc_u16 v3, v26, 28
	v_add_nc_u32_e32 v6, -7, v26
	v_cmp_gt_u32_e32 vcc_lo, 7, v26
	s_load_b64 s[0:1], s[0:1], 0x0
	v_dual_mov_b32 v9, 0 :: v_dual_and_b32 v0, 0xff, v2
	s_delay_alu instid0(VALU_DEP_3)
	v_dual_cndmask_b32 v8, v6, v26 :: v_dual_and_b32 v1, 0xff, v3
	global_wb scope:SCOPE_SE
	s_wait_dscnt 0x0
	v_mul_lo_u16 v0, v0, 37
	s_wait_kmcnt 0x0
	s_barrier_signal -1
	v_mul_lo_u16 v1, v1, 37
	s_barrier_wait -1
	global_inv scope:SCOPE_SE
	v_lshrrev_b16 v0, 8, v0
	s_add_co_i32 s6, 0, 0x3f00
	v_lshrrev_b16 v1, 8, v1
	s_delay_alu instid0(VALU_DEP_2) | instskip(NEXT) | instid1(VALU_DEP_2)
	v_sub_nc_u16 v4, v2, v0
	v_sub_nc_u16 v5, v3, v1
	s_delay_alu instid0(VALU_DEP_2) | instskip(NEXT) | instid1(VALU_DEP_2)
	v_lshrrev_b16 v4, 1, v4
	v_lshrrev_b16 v5, 1, v5
	s_delay_alu instid0(VALU_DEP_2) | instskip(NEXT) | instid1(VALU_DEP_2)
	v_and_b32_e32 v4, 0x7f, v4
	v_and_b32_e32 v5, 0x7f, v5
	s_delay_alu instid0(VALU_DEP_2) | instskip(NEXT) | instid1(VALU_DEP_2)
	v_add_nc_u16 v0, v4, v0
	v_add_nc_u16 v1, v5, v1
	s_delay_alu instid0(VALU_DEP_2) | instskip(NEXT) | instid1(VALU_DEP_2)
	v_lshrrev_b16 v34, 2, v0
	v_lshrrev_b16 v35, 2, v1
	v_lshlrev_b64_e32 v[0:1], 3, v[8:9]
	s_delay_alu instid0(VALU_DEP_3) | instskip(NEXT) | instid1(VALU_DEP_3)
	v_mul_lo_u16 v4, v34, 7
	v_mul_lo_u16 v5, v35, 7
	s_delay_alu instid0(VALU_DEP_3) | instskip(SKIP_1) | instid1(VALU_DEP_4)
	v_add_co_u32 v0, vcc_lo, s22, v0
	s_wait_alu 0xfffd
	v_add_co_ci_u32_e32 v1, vcc_lo, s23, v1, vcc_lo
	v_sub_nc_u16 v2, v2, v4
	v_sub_nc_u16 v3, v3, v5
	v_cmp_lt_u32_e32 vcc_lo, 6, v26
	global_load_b64 v[10:11], v[0:1], off
	v_and_b32_e32 v0, 0xff, v2
	v_and_b32_e32 v1, 0xff, v3
	s_wait_alu 0xfffd
	v_cndmask_b32_e64 v4, 0, 0x70, vcc_lo
	s_delay_alu instid0(VALU_DEP_3) | instskip(NEXT) | instid1(VALU_DEP_3)
	v_lshlrev_b32_e32 v36, 3, v0
	v_lshlrev_b32_e32 v37, 3, v1
	s_clause 0x1
	global_load_b64 v[12:13], v36, s[22:23]
	global_load_b64 v[28:29], v37, s[22:23]
	ds_load_2addr_b64 v[0:3], v23 offset0:42 offset1:56
	v_add_nc_u32_e32 v39, 0, v4
	ds_load_2addr_b64 v[4:7], v23 offset0:14 offset1:28
	ds_load_b64 v[30:31], v24
	ds_load_b64 v[32:33], v23 offset:560
	v_lshlrev_b32_e32 v38, 3, v8
	v_mul_i32_i24_e32 v8, 5, v26
	global_wb scope:SCOPE_SE
	s_wait_loadcnt_dscnt 0x0
	s_barrier_signal -1
	s_barrier_wait -1
	v_add3_u32 v38, v39, v38, v27
	v_lshlrev_b64_e32 v[8:9], 3, v[8:9]
	global_inv scope:SCOPE_SE
	v_add_co_u32 v8, vcc_lo, s22, v8
	s_wait_alu 0xfffd
	v_add_co_ci_u32_e32 v9, vcc_lo, s23, v9, vcc_lo
	v_mul_f32_e32 v39, v11, v1
	v_dual_mul_f32 v11, v11, v0 :: v_dual_and_b32 v34, 0xffff, v34
	s_delay_alu instid0(VALU_DEP_2) | instskip(NEXT) | instid1(VALU_DEP_2)
	v_fmac_f32_e32 v39, v10, v0
	v_fma_f32 v1, v10, v1, -v11
	s_delay_alu instid0(VALU_DEP_3) | instskip(NEXT) | instid1(VALU_DEP_3)
	v_mad_u32_u24 v34, 0x70, v34, 0
	v_sub_f32_e32 v0, v30, v39
	v_mul_f32_e32 v10, v13, v3
	v_mul_f32_e32 v11, v13, v2
	;; [unrolled: 1-line block ×4, first 2 shown]
	s_delay_alu instid0(VALU_DEP_4) | instskip(NEXT) | instid1(VALU_DEP_4)
	v_dual_sub_f32 v1, v31, v1 :: v_dual_fmac_f32 v10, v12, v2
	v_fma_f32 v3, v12, v3, -v11
	s_delay_alu instid0(VALU_DEP_4) | instskip(SKIP_2) | instid1(VALU_DEP_4)
	v_fmac_f32_e32 v13, v28, v32
	v_and_b32_e32 v35, 0xffff, v35
	v_fma_f32 v28, v28, v33, -v29
	v_dual_sub_f32 v10, v4, v10 :: v_dual_sub_f32 v11, v5, v3
	s_delay_alu instid0(VALU_DEP_4) | instskip(NEXT) | instid1(VALU_DEP_4)
	v_sub_f32_e32 v12, v6, v13
	v_mad_u32_u24 v35, 0x70, v35, 0
	s_delay_alu instid0(VALU_DEP_4)
	v_sub_f32_e32 v13, v7, v28
	v_fma_f32 v2, v30, 2.0, -v0
	v_fma_f32 v3, v31, 2.0, -v1
	v_add3_u32 v34, v34, v36, v27
	v_fma_f32 v4, v4, 2.0, -v10
	v_fma_f32 v5, v5, 2.0, -v11
	v_add3_u32 v27, v35, v37, v27
	v_fma_f32 v6, v6, 2.0, -v12
	v_fma_f32 v7, v7, 2.0, -v13
	ds_store_2addr_b64 v38, v[2:3], v[0:1] offset1:7
	ds_store_2addr_b64 v34, v[4:5], v[10:11] offset1:7
	;; [unrolled: 1-line block ×3, first 2 shown]
	global_wb scope:SCOPE_SE
	s_wait_dscnt 0x0
	s_barrier_signal -1
	s_barrier_wait -1
	global_inv scope:SCOPE_SE
	s_clause 0x2
	global_load_b128 v[0:3], v[8:9], off offset:56
	global_load_b128 v[4:7], v[8:9], off offset:72
	global_load_b64 v[12:13], v[8:9], off offset:88
	v_mul_lo_u32 v8, v26, v25
	v_mul_lo_u32 v9, v25, 14
	s_delay_alu instid0(VALU_DEP_2) | instskip(SKIP_2) | instid1(VALU_DEP_4)
	v_and_b32_e32 v10, 63, v8
	v_lshrrev_b32_e32 v11, 3, v8
	v_lshrrev_b32_e32 v25, 9, v8
	v_add_nc_u32_e32 v8, v8, v9
	s_delay_alu instid0(VALU_DEP_4) | instskip(NEXT) | instid1(VALU_DEP_4)
	v_lshl_add_u32 v10, v10, 3, 0
	v_and_b32_e32 v11, 0x1f8, v11
	s_delay_alu instid0(VALU_DEP_4) | instskip(NEXT) | instid1(VALU_DEP_4)
	v_and_b32_e32 v25, 0x1f8, v25
	v_and_b32_e32 v26, 63, v8
	v_lshrrev_b32_e32 v27, 3, v8
	v_lshrrev_b32_e32 v28, 9, v8
	v_add_nc_u32_e32 v8, v8, v9
	s_wait_alu 0xfffe
	v_add_nc_u32_e32 v11, s6, v11
	v_add_nc_u32_e32 v25, s6, v25
	v_and_b32_e32 v27, 0x1f8, v27
	v_and_b32_e32 v28, 0x1f8, v28
	;; [unrolled: 1-line block ×3, first 2 shown]
	v_lshrrev_b32_e32 v30, 3, v8
	v_lshrrev_b32_e32 v31, 9, v8
	v_add_nc_u32_e32 v8, v8, v9
	v_lshl_add_u32 v26, v26, 3, 0
	v_lshl_add_u32 v41, v29, 3, 0
	v_and_b32_e32 v29, 0x1f8, v30
	v_and_b32_e32 v30, 0x1f8, v31
	;; [unrolled: 1-line block ×3, first 2 shown]
	v_lshrrev_b32_e32 v32, 3, v8
	v_lshrrev_b32_e32 v33, 9, v8
	v_add_nc_u32_e32 v8, v8, v9
	v_add_nc_u32_e32 v43, s6, v29
	v_add_nc_u32_e32 v45, s6, v30
	v_and_b32_e32 v29, 0x1f8, v32
	v_lshl_add_u32 v47, v31, 3, 0
	v_add_nc_u32_e32 v9, v8, v9
	v_and_b32_e32 v30, 0x1f8, v33
	v_and_b32_e32 v31, 63, v8
	v_lshrrev_b32_e32 v32, 3, v8
	v_add_nc_u32_e32 v49, s6, v29
	v_lshrrev_b32_e32 v29, 3, v9
	v_lshrrev_b32_e32 v8, 9, v8
	v_add_nc_u32_e32 v65, s6, v30
	v_lshl_add_u32 v51, v31, 3, 0
	v_and_b32_e32 v30, 0x1f8, v32
	v_and_b32_e32 v31, 63, v9
	;; [unrolled: 1-line block ×4, first 2 shown]
	v_add_nc_u32_e32 v27, s6, v27
	v_add_nc_u32_e32 v53, s6, v30
	v_lshl_add_u32 v57, v31, 3, 0
	v_add_nc_u32_e32 v59, s6, v29
	v_add_nc_u32_e32 v28, s6, v28
	;; [unrolled: 1-line block ×3, first 2 shown]
	ds_load_b64 v[29:30], v10 offset:16128
	ds_load_b64 v[31:32], v11 offset:512
	;; [unrolled: 1-line block ×16, first 2 shown]
	s_wait_dscnt 0xb
	v_mul_f32_e32 v69, v36, v38
	v_mul_f32_e32 v38, v35, v38
	s_wait_dscnt 0x8
	v_mul_f32_e32 v70, v42, v44
	s_wait_dscnt 0x5
	v_dual_mul_f32 v44, v41, v44 :: v_dual_mul_f32 v71, v48, v50
	v_mul_f32_e32 v50, v47, v50
	s_wait_dscnt 0x3
	v_mul_f32_e32 v72, v52, v54
	v_mul_f32_e32 v54, v51, v54
	s_wait_dscnt 0x0
	v_dual_fmac_f32 v38, v36, v37 :: v_dual_mul_f32 v73, v58, v60
	v_mul_f32_e32 v60, v57, v60
	v_fmac_f32_e32 v50, v48, v49
	v_fmac_f32_e32 v54, v52, v53
	;; [unrolled: 1-line block ×3, first 2 shown]
	v_fma_f32 v36, v57, v59, -v73
	v_fmac_f32_e32 v60, v58, v59
	v_lshrrev_b32_e32 v9, 9, v9
	v_mul_f32_e32 v48, v54, v56
	s_delay_alu instid0(VALU_DEP_2) | instskip(NEXT) | instid1(VALU_DEP_1)
	v_dual_mul_f32 v42, v44, v46 :: v_dual_and_b32 v9, 0x1f8, v9
	v_add_nc_u32_e32 v67, s6, v9
	ds_load_2addr_b64 v[8:11], v23 offset0:14 offset1:28
	ds_load_2addr_b64 v[25:28], v23 offset0:42 offset1:56
	ds_load_b64 v[61:62], v24
	ds_load_b64 v[63:64], v23 offset:560
	ds_load_b64 v[65:66], v65 offset:1024
	;; [unrolled: 1-line block ×3, first 2 shown]
	v_mul_f32_e32 v24, v30, v32
	v_mul_f32_e32 v32, v29, v32
	global_wb scope:SCOPE_SE
	s_wait_loadcnt_dscnt 0x0
	s_barrier_signal -1
	s_barrier_wait -1
	v_fma_f32 v24, v29, v31, -v24
	v_fmac_f32_e32 v32, v30, v31
	v_fma_f32 v29, v35, v37, -v69
	v_fma_f32 v30, v41, v43, -v70
	;; [unrolled: 1-line block ×3, first 2 shown]
	v_mul_f32_e32 v41, v38, v40
	v_mul_f32_e32 v37, v32, v34
	;; [unrolled: 1-line block ×3, first 2 shown]
	v_dual_mul_f32 v40, v29, v40 :: v_dual_mul_f32 v43, v30, v46
	v_fma_f32 v31, v47, v49, -v71
	s_delay_alu instid0(VALU_DEP_4) | instskip(NEXT) | instid1(VALU_DEP_4)
	v_fma_f32 v24, v33, v24, -v37
	v_fmac_f32_e32 v34, v33, v32
	s_delay_alu instid0(VALU_DEP_4)
	v_dual_fmac_f32 v40, v39, v38 :: v_dual_mul_f32 v51, v60, v68
	v_mul_f32_e32 v52, v36, v68
	v_fmac_f32_e32 v43, v45, v44
	v_fma_f32 v32, v55, v35, -v48
	v_fma_f32 v29, v39, v29, -v41
	;; [unrolled: 1-line block ×3, first 2 shown]
	v_fmac_f32_e32 v52, v67, v60
	v_mul_f32_e32 v47, v31, v66
	v_mul_f32_e32 v46, v50, v66
	v_fma_f32 v30, v45, v30, -v42
	global_inv scope:SCOPE_SE
	v_fmac_f32_e32 v47, v65, v50
	v_fma_f32 v31, v65, v31, -v46
	v_dual_mul_f32 v36, v3, v11 :: v_dual_mul_f32 v37, v5, v26
	v_mul_f32_e32 v38, v7, v28
	v_mul_f32_e32 v49, v35, v56
	s_delay_alu instid0(VALU_DEP_3) | instskip(NEXT) | instid1(VALU_DEP_3)
	v_dual_mul_f32 v35, v1, v9 :: v_dual_fmac_f32 v36, v2, v10
	v_dual_mul_f32 v1, v1, v8 :: v_dual_fmac_f32 v38, v6, v27
	v_mul_f32_e32 v3, v3, v10
	v_mul_f32_e32 v7, v7, v27
	;; [unrolled: 1-line block ×3, first 2 shown]
	v_fmac_f32_e32 v35, v0, v8
	v_fma_f32 v0, v0, v9, -v1
	v_fma_f32 v1, v2, v11, -v3
	;; [unrolled: 1-line block ×3, first 2 shown]
	v_add_f32_e32 v6, v36, v38
	v_fmac_f32_e32 v37, v4, v25
	v_fma_f32 v2, v4, v26, -v5
	v_dual_add_f32 v8, v62, v1 :: v_dual_fmac_f32 v49, v55, v54
	s_delay_alu instid0(VALU_DEP_4) | instskip(SKIP_3) | instid1(VALU_DEP_1)
	v_fma_f32 v6, -0.5, v6, v61
	v_sub_f32_e32 v9, v36, v38
	v_sub_f32_e32 v7, v1, v3
	v_add_f32_e32 v1, v1, v3
	v_dual_add_f32 v5, v61, v36 :: v_dual_fmac_f32 v62, -0.5, v1
	v_dual_mul_f32 v39, v13, v64 :: v_dual_add_f32 v10, v35, v37
	v_mul_f32_e32 v13, v13, v63
	s_delay_alu instid0(VALU_DEP_2) | instskip(NEXT) | instid1(VALU_DEP_2)
	v_fmac_f32_e32 v39, v12, v63
	v_fma_f32 v4, v12, v64, -v13
	s_delay_alu instid0(VALU_DEP_1) | instskip(SKIP_1) | instid1(VALU_DEP_2)
	v_dual_add_f32 v13, v0, v2 :: v_dual_sub_f32 v12, v2, v4
	v_add_f32_e32 v2, v2, v4
	v_add_f32_e32 v4, v13, v4
	s_delay_alu instid0(VALU_DEP_2) | instskip(SKIP_3) | instid1(VALU_DEP_4)
	v_dual_fmac_f32 v0, -0.5, v2 :: v_dual_sub_f32 v25, v37, v39
	v_add_f32_e32 v1, v10, v39
	v_dual_add_f32 v3, v8, v3 :: v_dual_fmamk_f32 v8, v7, 0xbf5db3d7, v6
	v_fmac_f32_e32 v6, 0x3f5db3d7, v7
	v_fmamk_f32 v2, v25, 0x3f5db3d7, v0
	v_add_f32_e32 v11, v37, v39
	v_fmamk_f32 v7, v9, 0x3f5db3d7, v62
	v_fmac_f32_e32 v62, 0xbf5db3d7, v9
	s_delay_alu instid0(VALU_DEP_3) | instskip(SKIP_3) | instid1(VALU_DEP_4)
	v_dual_fmac_f32 v0, 0xbf5db3d7, v25 :: v_dual_fmac_f32 v35, -0.5, v11
	v_add_f32_e32 v11, v3, v4
	v_sub_f32_e32 v3, v3, v4
	v_add_f32_e32 v5, v5, v38
	v_dual_mul_f32 v4, 0xbf5db3d7, v2 :: v_dual_fmamk_f32 v9, v12, 0xbf5db3d7, v35
	s_delay_alu instid0(VALU_DEP_1) | instskip(NEXT) | instid1(VALU_DEP_4)
	v_dual_mul_f32 v25, -0.5, v0 :: v_dual_fmac_f32 v4, 0.5, v9
	v_dual_mul_f32 v13, 0.5, v2 :: v_dual_mul_f32 v2, v3, v47
	v_fmac_f32_e32 v35, 0x3f5db3d7, v12
	v_mul_f32_e32 v12, 0xbf5db3d7, v0
	v_mul_f32_e32 v0, v11, v34
	v_add_f32_e32 v10, v5, v1
	s_delay_alu instid0(VALU_DEP_1) | instskip(NEXT) | instid1(VALU_DEP_1)
	v_dual_sub_f32 v5, v5, v1 :: v_dual_fmac_f32 v0, v10, v24
	v_dual_mul_f32 v1, v10, v34 :: v_dual_fmac_f32 v2, v5, v31
	v_fmac_f32_e32 v25, 0x3f5db3d7, v35
	v_mul_f32_e32 v26, v5, v47
	v_fmac_f32_e32 v12, -0.5, v35
	s_delay_alu instid0(VALU_DEP_4) | instskip(SKIP_2) | instid1(VALU_DEP_4)
	v_fma_f32 v1, v11, v24, -v1
	v_fmac_f32_e32 v13, 0x3f5db3d7, v9
	v_add_f32_e32 v24, v62, v25
	v_add_f32_e32 v9, v6, v12
	v_sub_f32_e32 v12, v6, v12
	s_delay_alu instid0(VALU_DEP_3) | instskip(SKIP_3) | instid1(VALU_DEP_4)
	v_mul_f32_e32 v6, v24, v43
	v_fma_f32 v3, v3, v31, -v26
	v_sub_f32_e32 v26, v8, v4
	v_add_f32_e32 v5, v8, v4
	v_dual_mul_f32 v31, v12, v52 :: v_dual_fmac_f32 v6, v9, v30
	s_delay_alu instid0(VALU_DEP_3) | instskip(SKIP_2) | instid1(VALU_DEP_2)
	v_mul_f32_e32 v28, v26, v49
	v_sub_f32_e32 v25, v62, v25
	v_add_f32_e32 v11, v7, v13
	v_dual_sub_f32 v13, v7, v13 :: v_dual_mul_f32 v10, v25, v52
	s_delay_alu instid0(VALU_DEP_2) | instskip(SKIP_1) | instid1(VALU_DEP_3)
	v_mul_f32_e32 v4, v11, v40
	v_mul_f32_e32 v7, v5, v40
	;; [unrolled: 1-line block ×3, first 2 shown]
	s_delay_alu instid0(VALU_DEP_4) | instskip(NEXT) | instid1(VALU_DEP_4)
	v_fmac_f32_e32 v10, v12, v33
	v_fmac_f32_e32 v4, v5, v29
	v_mul_f32_e32 v27, v9, v43
	v_fma_f32 v5, v11, v29, -v7
	v_fmac_f32_e32 v8, v26, v32
	v_fma_f32 v9, v13, v32, -v28
	v_fma_f32 v11, v25, v33, -v31
	;; [unrolled: 1-line block ×3, first 2 shown]
	ds_store_2addr_b64 v23, v[0:1], v[4:5] offset1:14
	ds_store_2addr_b64 v23, v[6:7], v[2:3] offset0:28 offset1:42
	ds_store_2addr_b64 v23, v[8:9], v[10:11] offset0:56 offset1:70
	global_wb scope:SCOPE_SE
	s_wait_dscnt 0x0
	s_barrier_signal -1
	s_barrier_wait -1
	global_inv scope:SCOPE_SE
	s_and_saveexec_b32 s6, s8
	s_cbranch_execz .LBB0_20
; %bb.19:
	v_mad_co_u64_u32 v[4:5], null, s14, v20, 0
	v_mad_co_u64_u32 v[6:7], null, s12, v19, 0
	s_mul_u64 s[0:1], s[0:1], s[20:21]
	v_mad_co_u64_u32 v[8:9], null, s12, v17, 0
	s_wait_alu 0xfffe
	s_lshl_b64 s[0:1], s[0:1], 3
	s_delay_alu instid0(VALU_DEP_3) | instskip(SKIP_1) | instid1(VALU_DEP_3)
	v_mov_b32_e32 v0, v5
	s_lshl_b64 s[4:5], s[4:5], 3
	v_mov_b32_e32 v1, v7
	s_wait_alu 0xfffe
	s_add_nc_u64 s[0:1], s[2:3], s[0:1]
	v_add3_u32 v23, 0, v22, v21
	s_wait_alu 0xfffe
	s_add_nc_u64 s[0:1], s[0:1], s[4:5]
	v_mad_co_u64_u32 v[2:3], null, s15, v20, v[0:1]
	s_delay_alu instid0(VALU_DEP_1)
	v_mad_co_u64_u32 v[10:11], null, s13, v19, v[1:2]
	v_mad_co_u64_u32 v[11:12], null, s12, v18, 0
	v_mov_b32_e32 v5, v2
	v_mad_co_u64_u32 v[19:20], null, s12, v16, 0
	ds_load_2addr_b64 v[0:3], v23 offset1:14
	v_dual_mov_b32 v7, v10 :: v_dual_mov_b32 v10, v12
	v_lshlrev_b64_e32 v[4:5], 3, v[4:5]
	s_delay_alu instid0(VALU_DEP_2) | instskip(SKIP_1) | instid1(VALU_DEP_2)
	v_mad_co_u64_u32 v[12:13], null, s13, v18, v[10:11]
	s_wait_alu 0xfffe
	v_add_co_u32 v24, vcc_lo, s0, v4
	s_wait_alu 0xfffd
	s_delay_alu instid0(VALU_DEP_3) | instskip(SKIP_3) | instid1(VALU_DEP_2)
	v_add_co_ci_u32_e32 v25, vcc_lo, s1, v5, vcc_lo
	v_mad_co_u64_u32 v[4:5], null, s13, v17, v[9:10]
	v_mad_co_u64_u32 v[17:18], null, s12, v15, 0
	v_lshlrev_b64_e32 v[12:13], 3, v[11:12]
	v_dual_mov_b32 v9, v4 :: v_dual_mov_b32 v4, v18
	v_lshlrev_b64_e32 v[6:7], 3, v[6:7]
	s_delay_alu instid0(VALU_DEP_1) | instskip(SKIP_1) | instid1(VALU_DEP_2)
	v_add_co_u32 v5, vcc_lo, v24, v6
	s_wait_alu 0xfffd
	v_add_co_ci_u32_e32 v6, vcc_lo, v25, v7, vcc_lo
	v_mov_b32_e32 v7, v20
	s_wait_dscnt 0x0
	global_store_b64 v[5:6], v[0:1], off
	v_lshlrev_b64_e32 v[0:1], 3, v[8:9]
	v_mad_co_u64_u32 v[20:21], null, s13, v16, v[7:8]
	v_mad_co_u64_u32 v[21:22], null, s12, v14, 0
	;; [unrolled: 1-line block ×3, first 2 shown]
	ds_load_2addr_b64 v[4:7], v23 offset0:28 offset1:42
	v_add_co_u32 v0, vcc_lo, v24, v0
	v_lshlrev_b64_e32 v[15:16], 3, v[19:20]
	v_mov_b32_e32 v9, v22
	s_wait_alu 0xfffd
	v_add_co_ci_u32_e32 v1, vcc_lo, v25, v1, vcc_lo
	v_mov_b32_e32 v18, v8
	v_add_co_u32 v12, vcc_lo, v24, v12
	v_mad_co_u64_u32 v[19:20], null, s13, v14, v[9:10]
	ds_load_2addr_b64 v[8:11], v23 offset0:56 offset1:70
	v_lshlrev_b64_e32 v[17:18], 3, v[17:18]
	s_wait_alu 0xfffd
	v_add_co_ci_u32_e32 v13, vcc_lo, v25, v13, vcc_lo
	v_add_co_u32 v14, vcc_lo, v24, v15
	v_mov_b32_e32 v22, v19
	s_wait_alu 0xfffd
	v_add_co_ci_u32_e32 v15, vcc_lo, v25, v16, vcc_lo
	v_add_co_u32 v16, vcc_lo, v24, v17
	s_delay_alu instid0(VALU_DEP_3) | instskip(SKIP_2) | instid1(VALU_DEP_2)
	v_lshlrev_b64_e32 v[19:20], 3, v[21:22]
	s_wait_alu 0xfffd
	v_add_co_ci_u32_e32 v17, vcc_lo, v25, v18, vcc_lo
	v_add_co_u32 v18, vcc_lo, v24, v19
	s_wait_alu 0xfffd
	s_delay_alu instid0(VALU_DEP_3)
	v_add_co_ci_u32_e32 v19, vcc_lo, v25, v20, vcc_lo
	global_store_b64 v[0:1], v[2:3], off
	s_wait_dscnt 0x1
	s_clause 0x1
	global_store_b64 v[12:13], v[4:5], off
	global_store_b64 v[14:15], v[6:7], off
	s_wait_dscnt 0x0
	s_clause 0x1
	global_store_b64 v[16:17], v[8:9], off
	global_store_b64 v[18:19], v[10:11], off
.LBB0_20:
	s_nop 0
	s_sendmsg sendmsg(MSG_DEALLOC_VGPRS)
	s_endpgm
	.section	.rodata,"a",@progbits
	.p2align	6, 0x0
	.amdhsa_kernel fft_rtc_back_len84_factors_7_2_6_wgs_336_tpt_14_sp_op_CI_CI_sbcc_twdbase6_3step
		.amdhsa_group_segment_fixed_size 0
		.amdhsa_private_segment_fixed_size 0
		.amdhsa_kernarg_size 112
		.amdhsa_user_sgpr_count 2
		.amdhsa_user_sgpr_dispatch_ptr 0
		.amdhsa_user_sgpr_queue_ptr 0
		.amdhsa_user_sgpr_kernarg_segment_ptr 1
		.amdhsa_user_sgpr_dispatch_id 0
		.amdhsa_user_sgpr_private_segment_size 0
		.amdhsa_wavefront_size32 1
		.amdhsa_uses_dynamic_stack 0
		.amdhsa_enable_private_segment 0
		.amdhsa_system_sgpr_workgroup_id_x 1
		.amdhsa_system_sgpr_workgroup_id_y 0
		.amdhsa_system_sgpr_workgroup_id_z 0
		.amdhsa_system_sgpr_workgroup_info 0
		.amdhsa_system_vgpr_workitem_id 0
		.amdhsa_next_free_vgpr 74
		.amdhsa_next_free_sgpr 59
		.amdhsa_reserve_vcc 1
		.amdhsa_float_round_mode_32 0
		.amdhsa_float_round_mode_16_64 0
		.amdhsa_float_denorm_mode_32 3
		.amdhsa_float_denorm_mode_16_64 3
		.amdhsa_fp16_overflow 0
		.amdhsa_workgroup_processor_mode 1
		.amdhsa_memory_ordered 1
		.amdhsa_forward_progress 0
		.amdhsa_round_robin_scheduling 0
		.amdhsa_exception_fp_ieee_invalid_op 0
		.amdhsa_exception_fp_denorm_src 0
		.amdhsa_exception_fp_ieee_div_zero 0
		.amdhsa_exception_fp_ieee_overflow 0
		.amdhsa_exception_fp_ieee_underflow 0
		.amdhsa_exception_fp_ieee_inexact 0
		.amdhsa_exception_int_div_zero 0
	.end_amdhsa_kernel
	.text
.Lfunc_end0:
	.size	fft_rtc_back_len84_factors_7_2_6_wgs_336_tpt_14_sp_op_CI_CI_sbcc_twdbase6_3step, .Lfunc_end0-fft_rtc_back_len84_factors_7_2_6_wgs_336_tpt_14_sp_op_CI_CI_sbcc_twdbase6_3step
                                        ; -- End function
	.section	.AMDGPU.csdata,"",@progbits
; Kernel info:
; codeLenInByte = 6124
; NumSgprs: 61
; NumVgprs: 74
; ScratchSize: 0
; MemoryBound: 0
; FloatMode: 240
; IeeeMode: 1
; LDSByteSize: 0 bytes/workgroup (compile time only)
; SGPRBlocks: 7
; VGPRBlocks: 9
; NumSGPRsForWavesPerEU: 61
; NumVGPRsForWavesPerEU: 74
; Occupancy: 14
; WaveLimiterHint : 1
; COMPUTE_PGM_RSRC2:SCRATCH_EN: 0
; COMPUTE_PGM_RSRC2:USER_SGPR: 2
; COMPUTE_PGM_RSRC2:TRAP_HANDLER: 0
; COMPUTE_PGM_RSRC2:TGID_X_EN: 1
; COMPUTE_PGM_RSRC2:TGID_Y_EN: 0
; COMPUTE_PGM_RSRC2:TGID_Z_EN: 0
; COMPUTE_PGM_RSRC2:TIDIG_COMP_CNT: 0
	.text
	.p2alignl 7, 3214868480
	.fill 96, 4, 3214868480
	.type	__hip_cuid_9c6a958aca74b2de,@object ; @__hip_cuid_9c6a958aca74b2de
	.section	.bss,"aw",@nobits
	.globl	__hip_cuid_9c6a958aca74b2de
__hip_cuid_9c6a958aca74b2de:
	.byte	0                               ; 0x0
	.size	__hip_cuid_9c6a958aca74b2de, 1

	.ident	"AMD clang version 19.0.0git (https://github.com/RadeonOpenCompute/llvm-project roc-6.4.0 25133 c7fe45cf4b819c5991fe208aaa96edf142730f1d)"
	.section	".note.GNU-stack","",@progbits
	.addrsig
	.addrsig_sym __hip_cuid_9c6a958aca74b2de
	.amdgpu_metadata
---
amdhsa.kernels:
  - .args:
      - .actual_access:  read_only
        .address_space:  global
        .offset:         0
        .size:           8
        .value_kind:     global_buffer
      - .address_space:  global
        .offset:         8
        .size:           8
        .value_kind:     global_buffer
      - .offset:         16
        .size:           8
        .value_kind:     by_value
      - .actual_access:  read_only
        .address_space:  global
        .offset:         24
        .size:           8
        .value_kind:     global_buffer
      - .actual_access:  read_only
        .address_space:  global
        .offset:         32
        .size:           8
        .value_kind:     global_buffer
      - .actual_access:  read_only
        .address_space:  global
        .offset:         40
        .size:           8
        .value_kind:     global_buffer
      - .offset:         48
        .size:           8
        .value_kind:     by_value
      - .actual_access:  read_only
        .address_space:  global
        .offset:         56
        .size:           8
        .value_kind:     global_buffer
      - .actual_access:  read_only
        .address_space:  global
        .offset:         64
        .size:           8
        .value_kind:     global_buffer
      - .offset:         72
        .size:           4
        .value_kind:     by_value
      - .actual_access:  read_only
        .address_space:  global
        .offset:         80
        .size:           8
        .value_kind:     global_buffer
      - .actual_access:  read_only
        .address_space:  global
        .offset:         88
        .size:           8
        .value_kind:     global_buffer
      - .actual_access:  read_only
        .address_space:  global
        .offset:         96
        .size:           8
        .value_kind:     global_buffer
      - .actual_access:  write_only
        .address_space:  global
        .offset:         104
        .size:           8
        .value_kind:     global_buffer
    .group_segment_fixed_size: 0
    .kernarg_segment_align: 8
    .kernarg_segment_size: 112
    .language:       OpenCL C
    .language_version:
      - 2
      - 0
    .max_flat_workgroup_size: 336
    .name:           fft_rtc_back_len84_factors_7_2_6_wgs_336_tpt_14_sp_op_CI_CI_sbcc_twdbase6_3step
    .private_segment_fixed_size: 0
    .sgpr_count:     61
    .sgpr_spill_count: 0
    .symbol:         fft_rtc_back_len84_factors_7_2_6_wgs_336_tpt_14_sp_op_CI_CI_sbcc_twdbase6_3step.kd
    .uniform_work_group_size: 1
    .uses_dynamic_stack: false
    .vgpr_count:     74
    .vgpr_spill_count: 0
    .wavefront_size: 32
    .workgroup_processor_mode: 1
amdhsa.target:   amdgcn-amd-amdhsa--gfx1201
amdhsa.version:
  - 1
  - 2
...

	.end_amdgpu_metadata
